;; amdgpu-corpus repo=ROCm/rocFFT kind=compiled arch=gfx1030 opt=O3
	.text
	.amdgcn_target "amdgcn-amd-amdhsa--gfx1030"
	.amdhsa_code_object_version 6
	.protected	bluestein_single_fwd_len1000_dim1_sp_op_CI_CI ; -- Begin function bluestein_single_fwd_len1000_dim1_sp_op_CI_CI
	.globl	bluestein_single_fwd_len1000_dim1_sp_op_CI_CI
	.p2align	8
	.type	bluestein_single_fwd_len1000_dim1_sp_op_CI_CI,@function
bluestein_single_fwd_len1000_dim1_sp_op_CI_CI: ; @bluestein_single_fwd_len1000_dim1_sp_op_CI_CI
; %bb.0:
	s_load_dwordx4 s[12:15], s[4:5], 0x28
	v_mul_u32_u24_e32 v1, 0x290, v0
	v_mov_b32_e32 v65, 0
	s_mov_b32 s0, exec_lo
	v_lshrrev_b32_e32 v1, 16, v1
	v_add_nc_u32_e32 v64, s6, v1
	s_waitcnt lgkmcnt(0)
	v_cmpx_gt_u64_e64 s[12:13], v[64:65]
	s_cbranch_execz .LBB0_2
; %bb.1:
	s_clause 0x1
	s_load_dwordx4 s[0:3], s[4:5], 0x18
	s_load_dwordx4 s[8:11], s[4:5], 0x0
	v_mul_lo_u16 v1, 0x64, v1
	s_load_dwordx2 s[4:5], s[4:5], 0x38
	v_sub_nc_u16 v0, v0, v1
	v_and_b32_e32 v72, 0xffff, v0
	v_and_b32_e32 v21, 0xff, v0
	v_lshlrev_b32_e32 v71, 3, v72
	v_mul_lo_u16 v21, 0xcd, v21
	s_waitcnt lgkmcnt(0)
	s_load_dwordx4 s[16:19], s[0:1], 0x0
	s_clause 0x2
	global_load_dwordx2 v[48:49], v71, s[8:9]
	global_load_dwordx2 v[46:47], v71, s[8:9] offset:800
	global_load_dwordx2 v[44:45], v71, s[8:9] offset:1600
	v_add_co_u32 v34, s0, s8, v71
	v_add_co_ci_u32_e64 v35, null, s9, 0, s0
	v_lshrrev_b16 v29, 11, v21
	v_add_nc_u32_e32 v73, 0x1800, v71
	v_add_nc_u32_e32 v75, 0x400, v71
	;; [unrolled: 1-line block ×4, first 2 shown]
	v_mul_lo_u16 v27, v29, 10
	s_waitcnt lgkmcnt(0)
	v_mad_u64_u32 v[1:2], null, s18, v64, 0
	v_mad_u64_u32 v[3:4], null, s16, v72, 0
	s_mul_i32 s0, s17, 0x320
	s_mul_hi_u32 s1, s16, 0x320
	s_mul_i32 s6, s16, 0x320
	s_add_i32 s1, s1, s0
	v_mad_u64_u32 v[5:6], null, s19, v64, v[2:3]
	v_mad_u64_u32 v[6:7], null, s17, v72, v[4:5]
	v_mov_b32_e32 v2, v5
	v_add_co_u32 v7, vcc_lo, 0x800, v34
	v_add_co_ci_u32_e32 v8, vcc_lo, 0, v35, vcc_lo
	v_add_co_u32 v9, vcc_lo, 0x1000, v34
	v_mov_b32_e32 v4, v6
	v_lshlrev_b64 v[1:2], 3, v[1:2]
	v_add_co_ci_u32_e32 v10, vcc_lo, 0, v35, vcc_lo
	v_add_co_u32 v32, vcc_lo, 0x1800, v34
	v_add_co_ci_u32_e32 v33, vcc_lo, 0, v35, vcc_lo
	v_lshlrev_b64 v[3:4], 3, v[3:4]
	v_add_co_u32 v1, vcc_lo, s14, v1
	v_add_co_ci_u32_e32 v2, vcc_lo, s15, v2, vcc_lo
	s_clause 0x2
	global_load_dwordx2 v[56:57], v[7:8], off offset:352
	global_load_dwordx2 v[52:53], v[7:8], off offset:1152
	;; [unrolled: 1-line block ×3, first 2 shown]
	v_add_co_u32 v1, vcc_lo, v1, v3
	v_add_co_ci_u32_e32 v2, vcc_lo, v2, v4, vcc_lo
	s_clause 0x1
	global_load_dwordx2 v[58:59], v[9:10], off offset:704
	global_load_dwordx2 v[54:55], v[9:10], off offset:1504
	v_add_co_u32 v3, vcc_lo, v1, s6
	v_add_co_ci_u32_e32 v4, vcc_lo, s1, v2, vcc_lo
	global_load_dwordx2 v[1:2], v[1:2], off
	v_add_co_u32 v5, vcc_lo, v3, s6
	v_add_co_ci_u32_e32 v6, vcc_lo, s1, v4, vcc_lo
	v_add_co_u32 v7, vcc_lo, v5, s6
	v_add_co_ci_u32_e32 v8, vcc_lo, s1, v6, vcc_lo
	;; [unrolled: 2-line block ×3, first 2 shown]
	s_clause 0x2
	global_load_dwordx2 v[3:4], v[3:4], off
	global_load_dwordx2 v[5:6], v[5:6], off
	;; [unrolled: 1-line block ×3, first 2 shown]
	v_add_co_u32 v11, vcc_lo, v9, s6
	v_add_co_ci_u32_e32 v12, vcc_lo, s1, v10, vcc_lo
	global_load_dwordx2 v[9:10], v[9:10], off
	v_add_co_u32 v13, vcc_lo, v11, s6
	v_add_co_ci_u32_e32 v14, vcc_lo, s1, v12, vcc_lo
	global_load_dwordx2 v[11:12], v[11:12], off
	v_add_co_u32 v15, vcc_lo, v13, s6
	v_add_co_ci_u32_e32 v16, vcc_lo, s1, v14, vcc_lo
	global_load_dwordx2 v[13:14], v[13:14], off
	v_add_co_u32 v17, vcc_lo, v15, s6
	v_add_co_ci_u32_e32 v18, vcc_lo, s1, v16, vcc_lo
	global_load_dwordx2 v[15:16], v[15:16], off
	v_add_co_u32 v19, vcc_lo, v17, s6
	v_add_co_ci_u32_e32 v20, vcc_lo, s1, v18, vcc_lo
	global_load_dwordx2 v[17:18], v[17:18], off
	s_clause 0x1
	global_load_dwordx2 v[60:61], v[32:33], off offset:256
	global_load_dwordx2 v[62:63], v[32:33], off offset:1056
	global_load_dwordx2 v[19:20], v[19:20], off
	s_load_dwordx4 s[0:3], s[2:3], 0x0
	s_waitcnt lgkmcnt(0)
	s_mul_hi_u32 s6, s0, 0x320
	s_waitcnt vmcnt(11)
	v_mul_f32_e32 v21, v2, v49
	v_mul_f32_e32 v22, v1, v49
	v_fmac_f32_e32 v21, v1, v48
	v_fma_f32 v22, v2, v48, -v22
	s_waitcnt vmcnt(10)
	v_mul_f32_e32 v1, v4, v47
	v_mul_f32_e32 v24, v3, v47
	s_waitcnt vmcnt(9)
	v_mul_f32_e32 v25, v5, v45
	v_mul_f32_e32 v23, v6, v45
	v_fmac_f32_e32 v1, v3, v46
	s_waitcnt vmcnt(8)
	v_mul_f32_e32 v3, v8, v57
	v_fma_f32 v2, v4, v46, -v24
	v_fma_f32 v24, v6, v44, -v25
	v_mul_f32_e32 v4, v7, v57
	s_waitcnt vmcnt(7)
	v_mul_f32_e32 v6, v9, v53
	v_fmac_f32_e32 v23, v5, v44
	s_waitcnt vmcnt(6)
	v_mul_f32_e32 v25, v11, v51
	v_mul_f32_e32 v5, v10, v53
	v_fmac_f32_e32 v3, v7, v56
	v_mul_f32_e32 v7, v12, v51
	v_fma_f32 v4, v8, v56, -v4
	v_fma_f32 v6, v10, v52, -v6
	;; [unrolled: 1-line block ×3, first 2 shown]
	s_waitcnt vmcnt(5)
	v_mul_f32_e32 v10, v13, v59
	v_fmac_f32_e32 v5, v9, v52
	v_mul_f32_e32 v9, v14, v59
	s_waitcnt vmcnt(4)
	v_mul_f32_e32 v12, v16, v55
	v_fmac_f32_e32 v7, v11, v50
	v_mul_f32_e32 v11, v15, v55
	v_fma_f32 v10, v14, v58, -v10
	s_waitcnt vmcnt(2)
	v_mul_f32_e32 v14, v18, v61
	v_fmac_f32_e32 v12, v15, v54
	v_mul_f32_e32 v15, v17, v61
	s_waitcnt vmcnt(0)
	v_mul_f32_e32 v25, v20, v63
	v_mul_f32_e32 v26, v19, v63
	v_fmac_f32_e32 v9, v13, v58
	v_fma_f32 v13, v16, v54, -v11
	v_fmac_f32_e32 v14, v17, v60
	v_fma_f32 v15, v18, v60, -v15
	;; [unrolled: 2-line block ×3, first 2 shown]
	ds_write2_b64 v71, v[21:22], v[1:2] offset1:100
	ds_write2_b64 v75, v[23:24], v[3:4] offset0:72 offset1:172
	ds_write2_b64 v76, v[5:6], v[7:8] offset0:144 offset1:244
	;; [unrolled: 1-line block ×4, first 2 shown]
	s_waitcnt lgkmcnt(0)
	s_barrier
	buffer_gl0_inv
	ds_read2_b64 v[1:4], v71 offset1:100
	ds_read2_b64 v[5:8], v75 offset0:72 offset1:172
	ds_read2_b64 v[9:12], v76 offset0:144 offset1:244
	;; [unrolled: 1-line block ×4, first 2 shown]
	v_sub_nc_u16 v13, v0, v27
	v_mov_b32_e32 v14, 3
	v_mul_lo_u16 v0, v0, 10
	s_waitcnt lgkmcnt(0)
	s_barrier
	v_and_b32_e32 v16, 0xff, v13
	buffer_gl0_inv
	v_lshlrev_b32_sdwa v77, v14, v0 dst_sel:DWORD dst_unused:UNUSED_PAD src0_sel:DWORD src1_sel:WORD_0
	v_mad_u64_u32 v[25:26], null, 0x48, v16, s[10:11]
	v_add_f32_e32 v0, v1, v5
	v_add_f32_e32 v28, v2, v6
	;; [unrolled: 1-line block ×5, first 2 shown]
	v_sub_f32_e32 v38, v6, v10
	v_sub_f32_e32 v39, v10, v6
	v_add_f32_e32 v40, v11, v19
	v_sub_f32_e32 v43, v11, v7
	v_sub_f32_e32 v69, v6, v22
	v_add_f32_e32 v6, v6, v22
	v_add_f32_e32 v79, v7, v23
	v_sub_f32_e32 v85, v19, v23
	v_add_f32_e32 v65, v12, v20
	v_sub_f32_e32 v67, v8, v12
	v_sub_f32_e32 v68, v12, v8
	;; [unrolled: 1-line block ×3, first 2 shown]
	v_add_f32_e32 v8, v8, v24
	v_add_f32_e32 v13, v9, v17
	v_sub_f32_e32 v14, v10, v18
	v_sub_f32_e32 v15, v5, v9
	;; [unrolled: 1-line block ×7, first 2 shown]
	v_add_f32_e32 v0, v0, v9
	v_add_f32_e32 v9, v28, v10
	;; [unrolled: 1-line block ×5, first 2 shown]
	v_fma_f32 v36, -0.5, v79, v3
	v_fma_f32 v30, -0.5, v30, v2
	;; [unrolled: 1-line block ×4, first 2 shown]
	v_add_f32_e32 v70, v5, v21
	v_fma_f32 v28, -0.5, v65, v4
	v_fmac_f32_e32 v4, -0.5, v8
	v_sub_f32_e32 v7, v7, v23
	v_sub_f32_e32 v80, v21, v17
	;; [unrolled: 1-line block ×4, first 2 shown]
	v_fma_f32 v13, -0.5, v13, v1
	v_add_f32_e32 v6, v10, v19
	v_fmamk_f32 v10, v41, 0xbf737871, v36
	v_fmac_f32_e32 v36, 0x3f737871, v41
	v_fmamk_f32 v19, v78, 0x3f737871, v2
	v_sub_f32_e32 v87, v20, v24
	v_fma_f32 v37, -0.5, v70, v1
	v_add_f32_e32 v1, v9, v18
	v_add_f32_e32 v9, v11, v20
	v_fmamk_f32 v11, v66, 0x3f737871, v4
	v_fmac_f32_e32 v4, 0xbf737871, v66
	v_fmac_f32_e32 v2, 0xbf737871, v78
	v_sub_f32_e32 v86, v24, v20
	v_fmamk_f32 v20, v7, 0xbf737871, v28
	v_fmac_f32_e32 v28, 0x3f737871, v7
	v_sub_f32_e32 v5, v5, v21
	v_add_f32_e32 v3, v15, v80
	v_add_f32_e32 v15, v27, v81
	;; [unrolled: 1-line block ×4, first 2 shown]
	v_fmamk_f32 v17, v69, 0x3f737871, v13
	v_fmac_f32_e32 v13, 0xbf737871, v69
	v_fmac_f32_e32 v36, 0xbf167918, v78
	;; [unrolled: 1-line block ×3, first 2 shown]
	v_sub_f32_e32 v82, v22, v18
	v_sub_f32_e32 v83, v18, v22
	v_add_f32_e32 v8, v68, v87
	v_fmamk_f32 v18, v14, 0xbf737871, v37
	v_fmac_f32_e32 v37, 0x3f737871, v14
	v_fmac_f32_e32 v4, 0x3f167918, v7
	;; [unrolled: 1-line block ×5, first 2 shown]
	v_add_f32_e32 v40, v67, v86
	v_fmac_f32_e32 v28, 0x3f167918, v66
	v_fmamk_f32 v42, v5, 0xbf737871, v30
	v_fmamk_f32 v65, v31, 0x3f737871, v43
	v_fmac_f32_e32 v43, 0xbf737871, v31
	v_add_f32_e32 v22, v1, v22
	v_add_f32_e32 v9, v9, v24
	v_fmac_f32_e32 v17, 0x3f167918, v14
	v_fmac_f32_e32 v13, 0xbf167918, v14
	;; [unrolled: 1-line block ×5, first 2 shown]
	v_add_f32_e32 v21, v0, v21
	v_add_f32_e32 v6, v6, v23
	v_fmac_f32_e32 v18, 0x3f167918, v69
	v_fmac_f32_e32 v37, 0xbf167918, v69
	;; [unrolled: 1-line block ×8, first 2 shown]
	v_add_f32_e32 v38, v38, v82
	v_fmac_f32_e32 v42, 0xbf167918, v31
	v_fmac_f32_e32 v65, 0xbf167918, v5
	;; [unrolled: 1-line block ×3, first 2 shown]
	v_add_f32_e32 v1, v22, v9
	v_sub_f32_e32 v7, v22, v9
	v_fmac_f32_e32 v17, 0x3e9e377a, v3
	v_fmac_f32_e32 v13, 0x3e9e377a, v3
	v_fmac_f32_e32 v20, 0x3e9e377a, v40
	v_mul_f32_e32 v3, 0xbe9e377a, v36
	v_mul_f32_e32 v5, 0x3f4f1bbd, v19
	;; [unrolled: 1-line block ×3, first 2 shown]
	v_add_f32_e32 v39, v39, v83
	v_add_f32_e32 v0, v21, v6
	v_sub_f32_e32 v6, v21, v6
	v_fmac_f32_e32 v18, 0x3e9e377a, v15
	v_fmac_f32_e32 v37, 0x3e9e377a, v15
	v_mul_f32_e32 v21, 0xbe9e377a, v4
	v_mul_f32_e32 v9, 0x3f737871, v11
	;; [unrolled: 1-line block ×4, first 2 shown]
	v_fmac_f32_e32 v30, 0x3f167918, v31
	v_mul_f32_e32 v24, 0xbf4f1bbd, v28
	v_fmac_f32_e32 v42, 0x3e9e377a, v38
	v_fmac_f32_e32 v3, 0x3f737871, v4
	;; [unrolled: 1-line block ×12, first 2 shown]
	v_add_f32_e32 v2, v17, v5
	v_sub_f32_e32 v8, v17, v5
	v_add_f32_e32 v14, v37, v3
	v_sub_f32_e32 v17, v37, v3
	v_add_f32_e32 v3, v42, v22
	v_add_f32_e32 v12, v18, v9
	v_add_f32_e32 v4, v13, v15
	v_sub_f32_e32 v19, v13, v15
	v_add_f32_e32 v13, v65, v23
	v_add_f32_e32 v15, v43, v21
	;; [unrolled: 1-line block ×3, first 2 shown]
	v_sub_f32_e32 v10, v18, v9
	v_sub_f32_e32 v9, v42, v22
	;; [unrolled: 1-line block ×5, first 2 shown]
	ds_write_b128 v77, v[0:3]
	ds_write_b128 v77, v[12:15] offset:16
	ds_write_b128 v77, v[4:7] offset:32
	;; [unrolled: 1-line block ×4, first 2 shown]
	s_waitcnt lgkmcnt(0)
	s_barrier
	buffer_gl0_inv
	s_clause 0x4
	global_load_dwordx4 v[0:3], v[25:26], off
	global_load_dwordx4 v[4:7], v[25:26], off offset:16
	global_load_dwordx4 v[8:11], v[25:26], off offset:32
	;; [unrolled: 1-line block ×3, first 2 shown]
	global_load_dwordx2 v[65:66], v[25:26], off offset:64
	ds_read2_b64 v[17:20], v75 offset0:72 offset1:172
	ds_read2_b64 v[21:24], v76 offset0:144 offset1:244
	;; [unrolled: 1-line block ×4, first 2 shown]
	ds_read2_b64 v[40:43], v71 offset1:100
	v_mov_b32_e32 v30, 0x64
	v_mad_u64_u32 v[67:68], null, 0x48, v72, s[10:11]
	s_waitcnt vmcnt(0) lgkmcnt(0)
	s_barrier
	v_mul_u32_u24_sdwa v29, v29, v30 dst_sel:DWORD dst_unused:UNUSED_PAD src0_sel:WORD_0 src1_sel:DWORD
	buffer_gl0_inv
	v_add_lshl_u32 v78, v29, v16, 3
	v_mul_f32_e32 v16, v18, v3
	v_mul_f32_e32 v29, v17, v3
	;; [unrolled: 1-line block ×18, first 2 shown]
	v_fma_f32 v16, v17, v2, -v16
	v_fmac_f32_e32 v29, v18, v2
	v_fma_f32 v17, v19, v4, -v30
	v_fmac_f32_e32 v31, v20, v4
	;; [unrolled: 2-line block ×4, first 2 shown]
	v_fma_f32 v20, v25, v10, -v81
	v_fma_f32 v21, v27, v12, -v83
	v_fmac_f32_e32 v84, v28, v12
	v_fma_f32 v22, v36, v14, -v85
	v_fma_f32 v23, v38, v65, -v87
	v_fmac_f32_e32 v88, v39, v65
	v_fma_f32 v24, v42, v0, -v89
	v_fmac_f32_e32 v90, v43, v0
	v_fmac_f32_e32 v82, v26, v10
	;; [unrolled: 1-line block ×3, first 2 shown]
	v_add_f32_e32 v25, v18, v20
	v_sub_f32_e32 v37, v16, v18
	v_sub_f32_e32 v38, v22, v20
	v_add_f32_e32 v83, v19, v21
	v_add_f32_e32 v85, v80, v84
	;; [unrolled: 1-line block ×3, first 2 shown]
	v_sub_f32_e32 v43, v17, v19
	v_sub_f32_e32 v79, v31, v80
	v_sub_f32_e32 v87, v17, v23
	v_sub_f32_e32 v91, v31, v88
	v_add_f32_e32 v93, v24, v17
	v_add_f32_e32 v94, v90, v31
	v_sub_f32_e32 v101, v19, v17
	v_add_f32_e32 v17, v17, v23
	v_sub_f32_e32 v103, v80, v31
	v_add_f32_e32 v31, v31, v88
	v_add_f32_e32 v27, v70, v82
	;; [unrolled: 1-line block ×3, first 2 shown]
	v_sub_f32_e32 v69, v23, v21
	v_fma_f32 v105, -0.5, v25, v40
	v_add_f32_e32 v25, v37, v38
	v_fma_f32 v37, -0.5, v83, v24
	v_fma_f32 v38, -0.5, v85, v90
	v_add_f32_e32 v26, v16, v22
	v_add_f32_e32 v36, v41, v29
	v_sub_f32_e32 v39, v29, v70
	v_sub_f32_e32 v42, v86, v82
	;; [unrolled: 1-line block ×8, first 2 shown]
	v_add_f32_e32 v18, v30, v18
	v_add_f32_e32 v19, v93, v19
	v_fmac_f32_e32 v24, -0.5, v17
	v_fmac_f32_e32 v90, -0.5, v31
	v_sub_f32_e32 v81, v88, v84
	v_fma_f32 v106, -0.5, v27, v41
	v_fma_f32 v41, -0.5, v28, v41
	v_add_f32_e32 v27, v43, v69
	v_fmamk_f32 v43, v87, 0xbf737871, v38
	v_fmamk_f32 v69, v91, 0x3f737871, v37
	v_sub_f32_e32 v96, v70, v82
	v_sub_f32_e32 v102, v21, v23
	;; [unrolled: 1-line block ×3, first 2 shown]
	v_fma_f32 v40, -0.5, v26, v40
	v_add_f32_e32 v26, v39, v42
	v_add_f32_e32 v30, v36, v70
	v_add_f32_e32 v36, v94, v80
	v_add_f32_e32 v39, v16, v99
	v_add_f32_e32 v16, v18, v20
	v_add_f32_e32 v18, v19, v21
	v_fmamk_f32 v20, v92, 0xbf737871, v24
	v_fmac_f32_e32 v24, 0x3f737871, v92
	v_fmamk_f32 v21, v89, 0x3f737871, v90
	v_fmac_f32_e32 v90, 0xbf737871, v89
	v_fmac_f32_e32 v37, 0xbf737871, v91
	;; [unrolled: 1-line block ×3, first 2 shown]
	v_sub_f32_e32 v95, v29, v86
	v_sub_f32_e32 v29, v70, v29
	;; [unrolled: 1-line block ×3, first 2 shown]
	v_add_f32_e32 v28, v79, v81
	v_fmamk_f32 v79, v98, 0x3f737871, v41
	v_fmac_f32_e32 v41, 0xbf737871, v98
	v_fmac_f32_e32 v43, 0xbf167918, v89
	;; [unrolled: 1-line block ×3, first 2 shown]
	v_add_f32_e32 v42, v101, v102
	v_add_f32_e32 v31, v103, v104
	;; [unrolled: 1-line block ×4, first 2 shown]
	v_fmamk_f32 v70, v96, 0xbf737871, v40
	v_fmac_f32_e32 v40, 0x3f737871, v96
	v_fmac_f32_e32 v20, 0x3f167918, v91
	;; [unrolled: 1-line block ×7, first 2 shown]
	v_add_f32_e32 v29, v29, v100
	v_fmamk_f32 v30, v95, 0x3f737871, v105
	v_fmamk_f32 v36, v97, 0xbf737871, v106
	v_fmac_f32_e32 v79, 0xbf167918, v97
	v_fmac_f32_e32 v41, 0x3f167918, v97
	;; [unrolled: 1-line block ×4, first 2 shown]
	v_add_f32_e32 v80, v17, v86
	v_add_f32_e32 v19, v19, v88
	v_fmac_f32_e32 v70, 0x3f167918, v95
	v_fmac_f32_e32 v40, 0xbf167918, v95
	;; [unrolled: 1-line block ×14, first 2 shown]
	v_mul_f32_e32 v28, 0x3f167918, v43
	v_mul_f32_e32 v29, 0xbf167918, v69
	v_add_f32_e32 v17, v80, v19
	v_fmac_f32_e32 v70, 0x3e9e377a, v39
	v_fmac_f32_e32 v40, 0x3e9e377a, v39
	v_sub_f32_e32 v19, v80, v19
	v_mul_f32_e32 v31, 0x3f737871, v21
	v_mul_f32_e32 v39, 0xbf737871, v20
	;; [unrolled: 1-line block ×4, first 2 shown]
	v_fmac_f32_e32 v105, 0xbf167918, v96
	v_fmac_f32_e32 v106, 0x3f167918, v98
	v_mul_f32_e32 v81, 0xbf4f1bbd, v37
	v_mul_f32_e32 v82, 0xbf4f1bbd, v38
	v_add_f32_e32 v22, v16, v22
	v_add_f32_e32 v18, v18, v23
	v_fmac_f32_e32 v30, 0x3e9e377a, v25
	v_fmac_f32_e32 v36, 0x3e9e377a, v26
	;; [unrolled: 1-line block ×12, first 2 shown]
	v_add_f32_e32 v16, v22, v18
	v_add_f32_e32 v20, v30, v28
	;; [unrolled: 1-line block ×3, first 2 shown]
	v_sub_f32_e32 v18, v22, v18
	v_add_f32_e32 v22, v70, v31
	v_add_f32_e32 v23, v79, v39
	;; [unrolled: 1-line block ×6, first 2 shown]
	v_sub_f32_e32 v28, v30, v28
	v_sub_f32_e32 v29, v36, v29
	;; [unrolled: 1-line block ×8, first 2 shown]
	ds_write2_b64 v78, v[16:17], v[20:21] offset1:10
	ds_write2_b64 v78, v[22:23], v[24:25] offset0:20 offset1:30
	ds_write2_b64 v78, v[26:27], v[18:19] offset0:40 offset1:50
	;; [unrolled: 1-line block ×4, first 2 shown]
	s_waitcnt lgkmcnt(0)
	s_barrier
	buffer_gl0_inv
	s_clause 0x4
	global_load_dwordx4 v[16:19], v[67:68], off offset:720
	global_load_dwordx4 v[20:23], v[67:68], off offset:736
	global_load_dwordx4 v[24:27], v[67:68], off offset:752
	global_load_dwordx4 v[28:31], v[67:68], off offset:768
	global_load_dwordx2 v[67:68], v[67:68], off offset:784
	ds_read2_b64 v[37:40], v75 offset0:72 offset1:172
	ds_read2_b64 v[79:82], v76 offset0:144 offset1:244
	ds_read2_b64 v[83:86], v74 offset0:88 offset1:188
	ds_read2_b64 v[87:90], v73 offset0:32 offset1:132
	ds_read2_b64 v[91:94], v71 offset1:100
	s_waitcnt vmcnt(4) lgkmcnt(4)
	v_mul_f32_e32 v41, v38, v19
	v_mul_f32_e32 v42, v37, v19
	s_waitcnt vmcnt(3)
	v_mul_f32_e32 v43, v40, v21
	v_mul_f32_e32 v69, v39, v21
	s_waitcnt lgkmcnt(3)
	v_mul_f32_e32 v70, v80, v23
	v_mul_f32_e32 v95, v79, v23
	s_waitcnt vmcnt(2)
	v_mul_f32_e32 v96, v82, v25
	v_mul_f32_e32 v97, v81, v25
	s_waitcnt lgkmcnt(2)
	v_mul_f32_e32 v98, v84, v27
	v_mul_f32_e32 v99, v83, v27
	s_waitcnt vmcnt(1)
	v_mul_f32_e32 v100, v86, v29
	s_waitcnt lgkmcnt(1)
	v_mul_f32_e32 v102, v88, v31
	v_mul_f32_e32 v103, v87, v31
	s_waitcnt vmcnt(0)
	v_mul_f32_e32 v104, v90, v68
	v_mul_f32_e32 v101, v85, v29
	;; [unrolled: 1-line block ×3, first 2 shown]
	s_waitcnt lgkmcnt(0)
	v_mul_f32_e32 v106, v94, v17
	v_mul_f32_e32 v36, v93, v17
	v_fma_f32 v41, v37, v18, -v41
	v_fmac_f32_e32 v42, v38, v18
	v_fma_f32 v43, v39, v20, -v43
	v_fmac_f32_e32 v69, v40, v20
	;; [unrolled: 2-line block ×5, first 2 shown]
	v_fma_f32 v80, v85, v28, -v100
	v_fma_f32 v81, v87, v30, -v102
	v_fmac_f32_e32 v103, v88, v30
	v_fma_f32 v82, v89, v67, -v104
	v_fmac_f32_e32 v101, v86, v28
	v_fmac_f32_e32 v105, v90, v67
	v_fma_f32 v37, v93, v16, -v106
	v_fmac_f32_e32 v36, v94, v16
	v_add_f32_e32 v83, v95, v99
	v_add_f32_e32 v84, v42, v103
	v_sub_f32_e32 v87, v41, v40
	v_sub_f32_e32 v88, v81, v79
	;; [unrolled: 1-line block ×6, first 2 shown]
	v_add_f32_e32 v38, v40, v79
	v_add_f32_e32 v39, v41, v81
	;; [unrolled: 1-line block ×4, first 2 shown]
	v_sub_f32_e32 v96, v69, v97
	v_sub_f32_e32 v98, v105, v101
	;; [unrolled: 1-line block ×4, first 2 shown]
	v_fma_f32 v106, -0.5, v83, v92
	v_fma_f32 v92, -0.5, v84, v92
	v_add_f32_e32 v83, v70, v80
	v_add_f32_e32 v84, v43, v82
	;; [unrolled: 1-line block ×5, first 2 shown]
	v_sub_f32_e32 v90, v70, v43
	v_add_f32_e32 v93, v93, v94
	v_sub_f32_e32 v94, v80, v82
	v_fma_f32 v104, -0.5, v38, v91
	v_fma_f32 v91, -0.5, v39, v91
	v_sub_f32_e32 v38, v95, v42
	v_sub_f32_e32 v39, v99, v103
	v_add_f32_e32 v96, v96, v98
	v_add_f32_e32 v98, v97, v101
	;; [unrolled: 1-line block ×6, first 2 shown]
	v_fma_f32 v83, -0.5, v83, v37
	v_fmac_f32_e32 v37, -0.5, v84
	v_add_f32_e32 v84, v90, v94
	v_add_f32_e32 v90, v36, v69
	v_add_f32_e32 v88, v88, v70
	v_add_f32_e32 v107, v38, v39
	v_sub_f32_e32 v38, v97, v69
	v_fma_f32 v94, -0.5, v98, v36
	v_sub_f32_e32 v40, v40, v79
	v_sub_f32_e32 v43, v43, v82
	;; [unrolled: 1-line block ×3, first 2 shown]
	v_add_f32_e32 v79, v85, v79
	v_add_f32_e32 v85, v86, v99
	v_fmac_f32_e32 v36, -0.5, v102
	v_sub_f32_e32 v70, v70, v80
	v_add_f32_e32 v90, v90, v97
	v_sub_f32_e32 v97, v97, v101
	v_add_f32_e32 v80, v88, v80
	;; [unrolled: 2-line block ×3, first 2 shown]
	v_fmamk_f32 v102, v69, 0x3f737871, v83
	v_fmamk_f32 v103, v43, 0xbf737871, v94
	v_sub_f32_e32 v39, v101, v105
	v_sub_f32_e32 v41, v41, v81
	v_add_f32_e32 v79, v79, v81
	v_fmamk_f32 v81, v97, 0xbf737871, v37
	v_fmac_f32_e32 v37, 0x3f737871, v97
	v_add_f32_e32 v80, v80, v82
	v_fmamk_f32 v82, v70, 0x3f737871, v36
	v_fmac_f32_e32 v36, 0xbf737871, v70
	v_fmac_f32_e32 v83, 0xbf737871, v69
	;; [unrolled: 1-line block ×3, first 2 shown]
	v_add_f32_e32 v86, v90, v101
	v_fmac_f32_e32 v102, 0x3f167918, v97
	v_fmac_f32_e32 v103, 0xbf167918, v70
	v_add_f32_e32 v98, v38, v39
	v_sub_f32_e32 v95, v95, v99
	v_fmamk_f32 v88, v42, 0x3f737871, v104
	v_fmac_f32_e32 v104, 0xbf737871, v42
	v_fmamk_f32 v101, v41, 0xbf737871, v106
	v_fmac_f32_e32 v106, 0x3f737871, v41
	v_fmac_f32_e32 v81, 0x3f167918, v69
	;; [unrolled: 1-line block ×7, first 2 shown]
	v_fmamk_f32 v99, v40, 0x3f737871, v92
	v_fmac_f32_e32 v92, 0xbf737871, v40
	v_add_f32_e32 v86, v86, v105
	v_fmac_f32_e32 v103, 0x3e9e377a, v96
	v_fmac_f32_e32 v102, 0x3e9e377a, v93
	v_fmamk_f32 v90, v95, 0xbf737871, v91
	v_fmac_f32_e32 v91, 0x3f737871, v95
	v_fmac_f32_e32 v88, 0x3f167918, v95
	;; [unrolled: 1-line block ×13, first 2 shown]
	v_add_f32_e32 v41, v85, v86
	v_sub_f32_e32 v43, v85, v86
	v_mul_f32_e32 v84, 0x3f167918, v103
	v_mul_f32_e32 v85, 0xbf167918, v102
	v_fmac_f32_e32 v90, 0x3f167918, v42
	v_fmac_f32_e32 v91, 0xbf167918, v42
	;; [unrolled: 1-line block ×6, first 2 shown]
	v_mul_f32_e32 v86, 0x3f737871, v82
	v_mul_f32_e32 v87, 0xbf737871, v81
	;; [unrolled: 1-line block ×6, first 2 shown]
	v_fmac_f32_e32 v84, 0x3f4f1bbd, v102
	v_fmac_f32_e32 v85, 0x3f4f1bbd, v103
	;; [unrolled: 1-line block ×12, first 2 shown]
	v_add_co_u32 v38, vcc_lo, 0x1f40, v34
	v_add_f32_e32 v40, v79, v80
	v_add_f32_e32 v36, v88, v84
	;; [unrolled: 1-line block ×3, first 2 shown]
	v_add_co_ci_u32_e32 v39, vcc_lo, 0, v35, vcc_lo
	v_sub_f32_e32 v42, v79, v80
	v_add_f32_e32 v69, v90, v86
	v_add_f32_e32 v70, v99, v87
	;; [unrolled: 1-line block ×6, first 2 shown]
	v_sub_f32_e32 v83, v88, v84
	v_sub_f32_e32 v84, v101, v85
	;; [unrolled: 1-line block ×8, first 2 shown]
	ds_write2_b64 v71, v[40:41], v[36:37] offset1:100
	ds_write2_b64 v75, v[69:70], v[79:80] offset0:72 offset1:172
	ds_write2_b64 v76, v[81:82], v[42:43] offset0:144 offset1:244
	;; [unrolled: 1-line block ×4, first 2 shown]
	s_waitcnt lgkmcnt(0)
	s_barrier
	buffer_gl0_inv
	s_clause 0x1
	global_load_dwordx2 v[36:37], v[32:33], off offset:1856
	global_load_dwordx2 v[40:41], v[38:39], off offset:800
	v_add_co_u32 v32, vcc_lo, 0x2800, v34
	v_add_co_ci_u32_e32 v33, vcc_lo, 0, v35, vcc_lo
	global_load_dwordx2 v[69:70], v[38:39], off offset:1600
	v_add_co_u32 v38, vcc_lo, 0x3000, v34
	v_add_co_ci_u32_e32 v39, vcc_lo, 0, v35, vcc_lo
	s_clause 0x3
	global_load_dwordx2 v[83:84], v[32:33], off offset:160
	global_load_dwordx2 v[85:86], v[32:33], off offset:960
	;; [unrolled: 1-line block ×4, first 2 shown]
	v_add_co_u32 v32, vcc_lo, 0x3800, v34
	v_add_co_ci_u32_e32 v33, vcc_lo, 0, v35, vcc_lo
	s_clause 0x2
	global_load_dwordx2 v[91:92], v[38:39], off offset:1312
	global_load_dwordx2 v[93:94], v[32:33], off offset:64
	;; [unrolled: 1-line block ×3, first 2 shown]
	ds_read2_b64 v[32:35], v71 offset1:100
	s_waitcnt vmcnt(9) lgkmcnt(0)
	v_mul_f32_e32 v39, v33, v37
	v_mul_f32_e32 v38, v32, v37
	s_waitcnt vmcnt(8)
	v_mul_f32_e32 v43, v35, v41
	v_mul_f32_e32 v42, v34, v41
	v_fma_f32 v37, v32, v36, -v39
	v_fmac_f32_e32 v38, v33, v36
	v_fma_f32 v41, v34, v40, -v43
	v_fmac_f32_e32 v42, v35, v40
	ds_write2_b64 v71, v[37:38], v[41:42] offset1:100
	ds_read2_b64 v[32:35], v75 offset0:72 offset1:172
	ds_read2_b64 v[36:39], v76 offset0:144 offset1:244
	;; [unrolled: 1-line block ×4, first 2 shown]
	s_waitcnt vmcnt(7) lgkmcnt(3)
	v_mul_f32_e32 v98, v32, v70
	v_mul_f32_e32 v97, v33, v70
	s_waitcnt vmcnt(6)
	v_mul_f32_e32 v70, v34, v84
	v_mul_f32_e32 v99, v35, v84
	s_waitcnt vmcnt(5) lgkmcnt(2)
	v_mul_f32_e32 v100, v37, v86
	v_mul_f32_e32 v84, v36, v86
	s_waitcnt vmcnt(4)
	v_mul_f32_e32 v101, v39, v88
	v_fmac_f32_e32 v98, v33, v69
	v_mul_f32_e32 v33, v38, v88
	s_waitcnt vmcnt(3) lgkmcnt(1)
	v_mul_f32_e32 v102, v41, v90
	v_fmac_f32_e32 v70, v35, v83
	v_mul_f32_e32 v35, v40, v90
	s_waitcnt vmcnt(2)
	v_mul_f32_e32 v90, v43, v92
	v_mul_f32_e32 v86, v42, v92
	v_fma_f32 v97, v32, v69, -v97
	v_fma_f32 v69, v34, v83, -v99
	s_waitcnt vmcnt(1) lgkmcnt(0)
	v_mul_f32_e32 v92, v80, v94
	v_fma_f32 v83, v36, v85, -v100
	v_mul_f32_e32 v88, v79, v94
	v_fmac_f32_e32 v84, v37, v85
	s_waitcnt vmcnt(0)
	v_mul_f32_e32 v36, v82, v96
	v_mul_f32_e32 v37, v81, v96
	v_fma_f32 v32, v38, v87, -v101
	v_fmac_f32_e32 v33, v39, v87
	v_fma_f32 v34, v40, v89, -v102
	v_fmac_f32_e32 v35, v41, v89
	;; [unrolled: 2-line block ×5, first 2 shown]
	ds_write2_b64 v75, v[97:98], v[69:70] offset0:72 offset1:172
	ds_write2_b64 v76, v[83:84], v[32:33] offset0:144 offset1:244
	;; [unrolled: 1-line block ×4, first 2 shown]
	s_waitcnt lgkmcnt(0)
	s_barrier
	buffer_gl0_inv
	ds_read2_b64 v[32:35], v71 offset1:100
	ds_read2_b64 v[104:107], v75 offset0:72 offset1:172
	ds_read2_b64 v[92:95], v76 offset0:144 offset1:244
	;; [unrolled: 1-line block ×4, first 2 shown]
	s_waitcnt lgkmcnt(0)
	s_barrier
	buffer_gl0_inv
	v_add_f32_e32 v86, v34, v106
	v_add_f32_e32 v84, v32, v104
	;; [unrolled: 1-line block ×3, first 2 shown]
	v_sub_f32_e32 v99, v105, v93
	v_add_f32_e32 v89, v94, v38
	v_sub_f32_e32 v102, v106, v94
	v_sub_f32_e32 v90, v94, v106
	;; [unrolled: 1-line block ×3, first 2 shown]
	v_add_f32_e32 v94, v86, v94
	v_add_f32_e32 v98, v106, v42
	v_sub_f32_e32 v86, v106, v42
	v_sub_f32_e32 v106, v41, v37
	v_add_f32_e32 v97, v35, v107
	v_add_f32_e32 v87, v92, v36
	v_sub_f32_e32 v79, v93, v37
	v_sub_f32_e32 v70, v104, v92
	;; [unrolled: 1-line block ×3, first 2 shown]
	v_add_f32_e32 v88, v93, v37
	v_sub_f32_e32 v80, v92, v36
	v_sub_f32_e32 v91, v93, v105
	v_add_f32_e32 v100, v95, v39
	v_sub_f32_e32 v103, v107, v95
	v_add_f32_e32 v96, v104, v40
	v_add_f32_e32 v92, v84, v92
	;; [unrolled: 1-line block ×3, first 2 shown]
	v_sub_f32_e32 v85, v104, v40
	v_add_f32_e32 v104, v107, v43
	v_add_f32_e32 v99, v99, v106
	v_sub_f32_e32 v106, v43, v39
	v_sub_f32_e32 v81, v95, v39
	;; [unrolled: 1-line block ×4, first 2 shown]
	v_add_f32_e32 v95, v97, v95
	v_add_f32_e32 v97, v105, v41
	v_sub_f32_e32 v105, v40, v36
	v_sub_f32_e32 v84, v107, v43
	v_add_f32_e32 v103, v103, v106
	v_sub_f32_e32 v106, v36, v40
	v_fma_f32 v100, -0.5, v100, v35
	v_fmac_f32_e32 v35, -0.5, v104
	v_sub_f32_e32 v104, v37, v41
	v_fma_f32 v96, -0.5, v96, v32
	v_fma_f32 v87, -0.5, v87, v32
	;; [unrolled: 1-line block ×4, first 2 shown]
	v_add_f32_e32 v32, v92, v36
	v_add_f32_e32 v36, v94, v38
	;; [unrolled: 1-line block ×3, first 2 shown]
	v_sub_f32_e32 v70, v42, v38
	v_add_f32_e32 v91, v91, v104
	v_sub_f32_e32 v104, v38, v42
	v_add_f32_e32 v38, v32, v40
	v_add_f32_e32 v36, v36, v42
	v_fmamk_f32 v40, v86, 0x3f737871, v100
	v_fmamk_f32 v42, v84, 0xbf737871, v34
	v_add_f32_e32 v102, v102, v70
	v_sub_f32_e32 v70, v39, v43
	v_fma_f32 v88, -0.5, v88, v33
	v_fma_f32 v97, -0.5, v97, v33
	v_add_f32_e32 v33, v93, v37
	v_add_f32_e32 v37, v95, v39
	v_fmamk_f32 v95, v82, 0xbf737871, v35
	v_fmac_f32_e32 v35, 0x3f737871, v82
	v_fmac_f32_e32 v100, 0xbf737871, v86
	v_fmac_f32_e32 v40, 0x3f167918, v82
	v_fmac_f32_e32 v42, 0xbf167918, v81
	v_add_f32_e32 v101, v101, v70
	v_add_f32_e32 v39, v33, v41
	v_fmamk_f32 v41, v81, 0x3f737871, v98
	v_fmac_f32_e32 v98, 0xbf737871, v81
	v_fmac_f32_e32 v35, 0xbf167918, v86
	;; [unrolled: 1-line block ×5, first 2 shown]
	v_fmamk_f32 v92, v83, 0xbf737871, v87
	v_fmamk_f32 v94, v85, 0x3f737871, v88
	v_fmac_f32_e32 v40, 0x3e9e377a, v103
	v_fmac_f32_e32 v42, 0x3e9e377a, v102
	v_add_f32_e32 v90, v90, v104
	v_fmamk_f32 v89, v79, 0x3f737871, v96
	v_fmac_f32_e32 v96, 0xbf737871, v79
	v_fmamk_f32 v93, v80, 0xbf737871, v97
	v_fmac_f32_e32 v97, 0x3f737871, v80
	v_add_f32_e32 v37, v37, v43
	v_fmac_f32_e32 v41, 0xbf167918, v84
	v_fmac_f32_e32 v98, 0x3f167918, v84
	;; [unrolled: 1-line block ×10, first 2 shown]
	v_add_f32_e32 v32, v38, v36
	v_sub_f32_e32 v38, v38, v36
	v_mul_f32_e32 v36, 0xbf167918, v40
	v_mul_f32_e32 v43, 0x3f167918, v42
	v_add_f32_e32 v106, v69, v106
	v_fmac_f32_e32 v89, 0xbf167918, v83
	v_fmac_f32_e32 v96, 0x3f167918, v83
	;; [unrolled: 1-line block ×4, first 2 shown]
	v_add_f32_e32 v33, v39, v37
	v_fmac_f32_e32 v41, 0x3e9e377a, v90
	v_fmac_f32_e32 v98, 0x3e9e377a, v90
	v_sub_f32_e32 v39, v39, v37
	v_mul_f32_e32 v83, 0xbf737871, v35
	v_mul_f32_e32 v84, 0xbe9e377a, v35
	;; [unrolled: 1-line block ×4, first 2 shown]
	v_fmac_f32_e32 v87, 0x3f167918, v79
	v_fmac_f32_e32 v88, 0xbf167918, v80
	;; [unrolled: 1-line block ×3, first 2 shown]
	v_mul_f32_e32 v86, 0xbf167918, v100
	v_mul_f32_e32 v90, 0xbf4f1bbd, v100
	v_fmac_f32_e32 v92, 0x3e9e377a, v105
	v_fmac_f32_e32 v94, 0x3e9e377a, v99
	v_fmac_f32_e32 v36, 0x3f4f1bbd, v42
	v_fmac_f32_e32 v43, 0x3f4f1bbd, v40
	v_fmac_f32_e32 v89, 0x3e9e377a, v106
	v_fmac_f32_e32 v96, 0x3e9e377a, v106
	v_fmac_f32_e32 v93, 0x3e9e377a, v91
	v_fmac_f32_e32 v97, 0x3e9e377a, v91
	v_fmac_f32_e32 v37, 0x3e9e377a, v41
	v_fmac_f32_e32 v85, 0x3f737871, v41
	v_fmac_f32_e32 v83, 0xbe9e377a, v98
	v_fmac_f32_e32 v84, 0x3f737871, v98
	v_mad_u64_u32 v[69:70], null, s2, v64, 0
	v_fmac_f32_e32 v87, 0x3e9e377a, v105
	v_fmac_f32_e32 v88, 0x3e9e377a, v99
	;; [unrolled: 1-line block ×4, first 2 shown]
	v_add_f32_e32 v34, v92, v36
	v_add_f32_e32 v35, v94, v43
	;; [unrolled: 1-line block ×6, first 2 shown]
	v_sub_f32_e32 v40, v92, v36
	v_sub_f32_e32 v42, v89, v37
	v_add_f32_e32 v36, v87, v86
	v_add_f32_e32 v37, v88, v90
	v_sub_f32_e32 v41, v94, v43
	v_sub_f32_e32 v43, v93, v85
	;; [unrolled: 1-line block ×6, first 2 shown]
	ds_write_b128 v77, v[32:35]
	ds_write_b128 v77, v[79:82] offset:16
	ds_write_b128 v77, v[36:39] offset:32
	;; [unrolled: 1-line block ×4, first 2 shown]
	v_mov_b32_e32 v40, v70
	s_waitcnt lgkmcnt(0)
	s_barrier
	buffer_gl0_inv
	ds_read2_b64 v[32:35], v73 offset0:32 offset1:132
	v_mad_u64_u32 v[83:84], null, s3, v64, v[40:41]
	ds_read2_b64 v[36:39], v74 offset0:88 offset1:188
	ds_read2_b64 v[40:43], v76 offset0:144 offset1:244
	;; [unrolled: 1-line block ×3, first 2 shown]
	v_mad_u64_u32 v[87:88], null, s0, v72, 0
	s_mov_b32 s2, 0xd2f1a9fc
	v_mov_b32_e32 v70, v83
	ds_read2_b64 v[83:86], v71 offset1:100
	s_waitcnt lgkmcnt(0)
	s_barrier
	buffer_gl0_inv
	v_mov_b32_e32 v64, v88
	s_mov_b32 s3, 0x3f50624d
	s_mulk_i32 s0, 0x320
	v_mad_u64_u32 v[88:89], null, s1, v72, v[64:65]
	v_mul_f32_e32 v64, v66, v35
	v_mul_f32_e32 v72, v15, v33
	;; [unrolled: 1-line block ×18, first 2 shown]
	v_fmac_f32_e32 v64, v65, v34
	v_fmac_f32_e32 v72, v14, v32
	v_fma_f32 v14, v14, v33, -v15
	v_fmac_f32_e32 v77, v12, v38
	v_fma_f32 v12, v12, v39, -v13
	;; [unrolled: 2-line block ×5, first 2 shown]
	v_fmac_f32_e32 v92, v4, v81
	v_fmac_f32_e32 v93, v2, v79
	v_fma_f32 v2, v2, v80, -v3
	v_fma_f32 v34, v65, v35, -v66
	;; [unrolled: 1-line block ×4, first 2 shown]
	v_add_f32_e32 v3, v6, v10
	v_add_f32_e32 v7, v2, v14
	v_sub_f32_e32 v13, v93, v91
	v_sub_f32_e32 v15, v72, v89
	v_sub_f32_e32 v35, v92, v90
	v_sub_f32_e32 v36, v64, v77
	v_add_f32_e32 v40, v8, v12
	v_fmac_f32_e32 v94, v0, v85
	v_sub_f32_e32 v37, v4, v8
	v_sub_f32_e32 v43, v4, v34
	v_add_f32_e32 v79, v5, v4
	v_sub_f32_e32 v98, v8, v4
	v_add_f32_e32 v4, v4, v34
	v_add_f32_e32 v0, v91, v89
	;; [unrolled: 1-line block ×4, first 2 shown]
	v_sub_f32_e32 v32, v2, v6
	v_sub_f32_e32 v33, v14, v10
	v_add_f32_e32 v39, v90, v77
	v_sub_f32_e32 v41, v92, v64
	v_fma_f32 v101, -0.5, v3, v84
	v_fma_f32 v84, -0.5, v7, v84
	v_add_f32_e32 v7, v13, v15
	v_add_f32_e32 v15, v35, v36
	v_fma_f32 v35, -0.5, v40, v5
	v_add_f32_e32 v9, v83, v93
	v_sub_f32_e32 v42, v90, v77
	v_add_f32_e32 v66, v94, v92
	v_sub_f32_e32 v96, v90, v92
	v_add_f32_e32 v92, v92, v64
	v_fmac_f32_e32 v5, -0.5, v4
	v_sub_f32_e32 v38, v34, v12
	v_sub_f32_e32 v80, v2, v14
	;; [unrolled: 1-line block ×5, first 2 shown]
	v_fma_f32 v100, -0.5, v0, v83
	v_fma_f32 v83, -0.5, v1, v83
	v_add_f32_e32 v13, v32, v33
	v_fma_f32 v33, -0.5, v39, v94
	v_add_f32_e32 v1, v11, v6
	v_add_f32_e32 v6, v79, v8
	v_fmamk_f32 v11, v41, 0x3f737871, v35
	v_sub_f32_e32 v65, v8, v12
	v_sub_f32_e32 v85, v91, v89
	;; [unrolled: 1-line block ×3, first 2 shown]
	v_add_f32_e32 v0, v9, v91
	v_add_f32_e32 v3, v66, v90
	v_fmac_f32_e32 v94, -0.5, v92
	v_fmamk_f32 v40, v42, 0xbf737871, v5
	v_fmac_f32_e32 v5, 0x3f737871, v42
	v_fmac_f32_e32 v35, 0xbf737871, v41
	v_add_f32_e32 v32, v37, v38
	v_fmamk_f32 v36, v43, 0xbf737871, v33
	v_add_f32_e32 v6, v6, v12
	v_fmamk_f32 v12, v82, 0x3f737871, v101
	v_fmac_f32_e32 v101, 0xbf737871, v82
	v_fmac_f32_e32 v11, 0x3f167918, v42
	v_sub_f32_e32 v95, v10, v14
	v_sub_f32_e32 v97, v77, v64
	v_add_f32_e32 v4, v98, v99
	v_add_f32_e32 v0, v0, v89
	;; [unrolled: 1-line block ×4, first 2 shown]
	v_fmamk_f32 v38, v85, 0xbf737871, v84
	v_fmac_f32_e32 v84, 0x3f737871, v85
	v_fmamk_f32 v39, v65, 0x3f737871, v94
	v_fmac_f32_e32 v94, 0xbf737871, v65
	v_fmac_f32_e32 v33, 0x3f737871, v43
	;; [unrolled: 1-line block ×5, first 2 shown]
	v_fmamk_f32 v10, v80, 0xbf737871, v100
	v_fmac_f32_e32 v36, 0xbf167918, v65
	v_fmac_f32_e32 v12, 0x3f167918, v85
	;; [unrolled: 1-line block ×4, first 2 shown]
	v_sub_f32_e32 v86, v91, v93
	v_sub_f32_e32 v93, v89, v72
	v_add_f32_e32 v2, v2, v95
	v_add_f32_e32 v9, v96, v97
	v_fmamk_f32 v37, v81, 0x3f737871, v83
	v_fmac_f32_e32 v83, 0xbf737871, v81
	v_add_f32_e32 v66, v0, v72
	v_add_f32_e32 v14, v1, v14
	;; [unrolled: 1-line block ×4, first 2 shown]
	v_fmac_f32_e32 v38, 0x3f167918, v82
	v_fmac_f32_e32 v84, 0xbf167918, v82
	;; [unrolled: 1-line block ×13, first 2 shown]
	v_mul_f32_e32 v13, 0xbf167918, v11
	v_mul_f32_e32 v11, 0x3f4f1bbd, v11
	v_add_f32_e32 v8, v86, v93
	v_fmac_f32_e32 v37, 0xbf167918, v80
	v_fmac_f32_e32 v83, 0x3f167918, v80
	v_add_f32_e32 v0, v66, v3
	v_add_f32_e32 v1, v14, v6
	v_fmac_f32_e32 v38, 0x3e9e377a, v2
	v_fmac_f32_e32 v84, 0x3e9e377a, v2
	;; [unrolled: 1-line block ×4, first 2 shown]
	v_sub_f32_e32 v2, v66, v3
	v_sub_f32_e32 v3, v14, v6
	v_fmac_f32_e32 v33, 0x3e9e377a, v15
	v_mul_f32_e32 v14, 0xbf737871, v40
	v_mul_f32_e32 v15, 0x3e9e377a, v40
	;; [unrolled: 1-line block ×4, first 2 shown]
	v_fmac_f32_e32 v100, 0x3f167918, v81
	v_mul_f32_e32 v40, 0xbf167918, v35
	v_mul_f32_e32 v35, 0xbf4f1bbd, v35
	v_fmac_f32_e32 v10, 0x3e9e377a, v7
	v_fmac_f32_e32 v13, 0x3f4f1bbd, v36
	;; [unrolled: 1-line block ×12, first 2 shown]
	v_add_f32_e32 v4, v10, v13
	v_add_f32_e32 v5, v12, v11
	v_add_f32_e32 v6, v37, v14
	v_add_f32_e32 v7, v38, v15
	v_add_f32_e32 v8, v83, v32
	v_add_f32_e32 v9, v84, v34
	v_sub_f32_e32 v11, v12, v11
	v_sub_f32_e32 v12, v37, v14
	;; [unrolled: 1-line block ×3, first 2 shown]
	v_add_f32_e32 v32, v100, v40
	v_add_f32_e32 v33, v101, v35
	v_sub_f32_e32 v10, v10, v13
	v_sub_f32_e32 v13, v38, v15
	;; [unrolled: 1-line block ×5, first 2 shown]
	ds_write2_b64 v78, v[0:1], v[4:5] offset1:10
	ds_write2_b64 v78, v[6:7], v[8:9] offset0:20 offset1:30
	ds_write2_b64 v78, v[32:33], v[2:3] offset0:40 offset1:50
	;; [unrolled: 1-line block ×4, first 2 shown]
	s_waitcnt lgkmcnt(0)
	s_barrier
	buffer_gl0_inv
	ds_read2_b64 v[2:5], v71 offset1:100
	ds_read2_b64 v[6:9], v75 offset0:72 offset1:172
	ds_read2_b64 v[10:13], v76 offset0:144 offset1:244
	;; [unrolled: 1-line block ×4, first 2 shown]
	v_lshlrev_b64 v[0:1], 3, v[69:70]
	v_lshlrev_b64 v[14:15], 3, v[87:88]
	s_mulk_i32 s1, 0x320
	s_add_i32 s1, s6, s1
	v_add_co_u32 v0, vcc_lo, s4, v0
	v_add_co_ci_u32_e32 v1, vcc_lo, s5, v1, vcc_lo
	v_add_co_u32 v0, vcc_lo, v0, v14
	v_add_co_ci_u32_e32 v1, vcc_lo, v1, v15, vcc_lo
	s_waitcnt lgkmcnt(4)
	v_mul_f32_e32 v14, v17, v5
	v_mul_f32_e32 v15, v17, v4
	s_waitcnt lgkmcnt(3)
	v_mul_f32_e32 v17, v19, v7
	v_mul_f32_e32 v19, v19, v6
	v_mul_f32_e32 v40, v21, v9
	v_mul_f32_e32 v21, v21, v8
	s_waitcnt lgkmcnt(2)
	v_mul_f32_e32 v41, v23, v11
	v_mul_f32_e32 v23, v23, v10
	;; [unrolled: 5-line block ×4, first 2 shown]
	v_mul_f32_e32 v66, v68, v39
	v_mul_f32_e32 v68, v68, v38
	v_fmac_f32_e32 v14, v16, v4
	v_fma_f32 v15, v16, v5, -v15
	v_fmac_f32_e32 v17, v18, v6
	v_fma_f32 v4, v18, v7, -v19
	;; [unrolled: 2-line block ×4, first 2 shown]
	v_fma_f32 v7, v24, v13, -v25
	v_fmac_f32_e32 v43, v26, v32
	v_fma_f32 v8, v26, v33, -v27
	v_fma_f32 v9, v28, v35, -v29
	;; [unrolled: 1-line block ×4, first 2 shown]
	v_fmac_f32_e32 v42, v24, v12
	v_fmac_f32_e32 v64, v28, v34
	;; [unrolled: 1-line block ×4, first 2 shown]
	v_add_f32_e32 v13, v41, v43
	v_sub_f32_e32 v25, v4, v6
	v_sub_f32_e32 v26, v10, v8
	v_add_f32_e32 v38, v7, v9
	v_add_f32_e32 v39, v5, v11
	v_sub_f32_e32 v20, v41, v17
	v_sub_f32_e32 v21, v43, v65
	v_add_f32_e32 v23, v6, v8
	v_add_f32_e32 v24, v4, v10
	;; [unrolled: 1-line block ×3, first 2 shown]
	v_sub_f32_e32 v30, v40, v42
	v_add_f32_e32 v32, v40, v66
	v_add_f32_e32 v33, v14, v40
	v_sub_f32_e32 v34, v42, v40
	v_add_f32_e32 v67, v15, v5
	v_sub_f32_e32 v40, v40, v66
	v_fma_f32 v79, -0.5, v13, v2
	v_add_f32_e32 v13, v25, v26
	v_fma_f32 v26, -0.5, v38, v15
	v_add_f32_e32 v22, v3, v4
	v_sub_f32_e32 v77, v42, v64
	v_fmac_f32_e32 v15, -0.5, v39
	v_sub_f32_e32 v16, v17, v41
	v_sub_f32_e32 v18, v65, v43
	v_add_f32_e32 v19, v17, v65
	v_sub_f32_e32 v31, v66, v64
	v_sub_f32_e32 v36, v5, v7
	;; [unrolled: 1-line block ×7, first 2 shown]
	v_fma_f32 v23, -0.5, v23, v3
	v_fma_f32 v24, -0.5, v24, v3
	v_add_f32_e32 v3, v20, v21
	v_fma_f32 v20, -0.5, v29, v14
	v_fmac_f32_e32 v14, -0.5, v32
	v_add_f32_e32 v7, v67, v7
	v_fmamk_f32 v32, v40, 0x3f737871, v26
	v_sub_f32_e32 v27, v6, v4
	v_sub_f32_e32 v28, v8, v10
	;; [unrolled: 1-line block ×4, first 2 shown]
	v_add_f32_e32 v6, v22, v6
	v_add_f32_e32 v22, v33, v42
	v_fmamk_f32 v33, v77, 0xbf737871, v15
	v_fmac_f32_e32 v15, 0x3f737871, v77
	v_fmac_f32_e32 v26, 0xbf737871, v40
	v_add_f32_e32 v12, v2, v17
	v_sub_f32_e32 v4, v4, v10
	v_sub_f32_e32 v17, v17, v65
	v_fma_f32 v19, -0.5, v19, v2
	v_add_f32_e32 v2, v16, v18
	v_add_f32_e32 v18, v30, v31
	;; [unrolled: 1-line block ×4, first 2 shown]
	v_fmamk_f32 v30, v70, 0xbf737871, v24
	v_fmac_f32_e32 v24, 0x3f737871, v70
	v_fmamk_f32 v9, v5, 0xbf737871, v20
	v_fmac_f32_e32 v32, 0x3f167918, v77
	v_sub_f32_e32 v35, v64, v66
	v_add_f32_e32 v16, v27, v28
	v_add_f32_e32 v27, v68, v69
	v_fmac_f32_e32 v20, 0x3f737871, v5
	v_fmamk_f32 v31, v78, 0x3f737871, v14
	v_fmac_f32_e32 v14, 0xbf737871, v78
	v_fmac_f32_e32 v33, 0x3f167918, v40
	;; [unrolled: 1-line block ×4, first 2 shown]
	v_add_f32_e32 v12, v12, v41
	v_add_f32_e32 v6, v6, v8
	;; [unrolled: 1-line block ×3, first 2 shown]
	v_fmamk_f32 v22, v4, 0xbf737871, v79
	v_fmamk_f32 v29, v17, 0x3f737871, v23
	v_fmac_f32_e32 v30, 0x3f167918, v17
	v_fmac_f32_e32 v24, 0xbf167918, v17
	;; [unrolled: 1-line block ×4, first 2 shown]
	v_add_f32_e32 v21, v34, v35
	v_fmamk_f32 v28, v72, 0x3f737871, v19
	v_fmac_f32_e32 v19, 0xbf737871, v72
	v_fmac_f32_e32 v20, 0x3f167918, v78
	;; [unrolled: 1-line block ×9, first 2 shown]
	v_add_f32_e32 v12, v12, v43
	v_fmac_f32_e32 v22, 0xbf167918, v72
	v_fmac_f32_e32 v29, 0x3f167918, v70
	;; [unrolled: 1-line block ×5, first 2 shown]
	v_mul_f32_e32 v16, 0xbf167918, v32
	v_mul_f32_e32 v25, 0x3f4f1bbd, v32
	v_fmac_f32_e32 v28, 0xbf167918, v4
	v_fmac_f32_e32 v19, 0x3f167918, v4
	;; [unrolled: 1-line block ×5, first 2 shown]
	v_mul_f32_e32 v17, 0xbf737871, v33
	v_mul_f32_e32 v18, 0xbf737871, v15
	;; [unrolled: 1-line block ×4, first 2 shown]
	v_fmac_f32_e32 v79, 0x3f167918, v72
	v_fmac_f32_e32 v23, 0xbf167918, v70
	v_mul_f32_e32 v21, 0xbf167918, v26
	v_mul_f32_e32 v26, 0xbf4f1bbd, v26
	v_add_f32_e32 v12, v12, v65
	v_add_f32_e32 v6, v6, v10
	;; [unrolled: 1-line block ×4, first 2 shown]
	v_fmac_f32_e32 v22, 0x3e9e377a, v2
	v_fmac_f32_e32 v29, 0x3e9e377a, v13
	;; [unrolled: 1-line block ×14, first 2 shown]
	v_add_f32_e32 v2, v12, v4
	v_add_f32_e32 v3, v6, v5
	v_sub_f32_e32 v5, v6, v5
	v_add_f32_e32 v6, v22, v16
	v_add_f32_e32 v7, v29, v25
	;; [unrolled: 1-line block ×6, first 2 shown]
	v_sub_f32_e32 v4, v12, v4
	v_add_f32_e32 v12, v79, v21
	v_add_f32_e32 v13, v23, v26
	v_sub_f32_e32 v14, v22, v16
	v_sub_f32_e32 v16, v28, v17
	;; [unrolled: 1-line block ×8, first 2 shown]
	ds_write2_b64 v71, v[2:3], v[6:7] offset1:100
	ds_write2_b64 v75, v[8:9], v[10:11] offset0:72 offset1:172
	ds_write2_b64 v76, v[12:13], v[4:5] offset0:144 offset1:244
	;; [unrolled: 1-line block ×4, first 2 shown]
	s_waitcnt lgkmcnt(0)
	s_barrier
	buffer_gl0_inv
	ds_read2_b64 v[2:5], v71 offset1:100
	ds_read2_b64 v[6:9], v75 offset0:72 offset1:172
	ds_read2_b64 v[10:13], v76 offset0:144 offset1:244
	;; [unrolled: 1-line block ×4, first 2 shown]
	v_add_co_u32 v22, vcc_lo, v0, s0
	v_add_co_ci_u32_e32 v23, vcc_lo, s1, v1, vcc_lo
	v_add_co_u32 v24, vcc_lo, v22, s0
	v_add_co_ci_u32_e32 v25, vcc_lo, s1, v23, vcc_lo
	;; [unrolled: 2-line block ×3, first 2 shown]
	v_add_co_u32 v28, vcc_lo, v26, s0
	s_waitcnt lgkmcnt(4)
	v_mul_f32_e32 v30, v49, v3
	v_mul_f32_e32 v31, v49, v2
	v_mul_f32_e32 v32, v47, v5
	v_mul_f32_e32 v33, v47, v4
	s_waitcnt lgkmcnt(3)
	v_mul_f32_e32 v34, v45, v7
	v_mul_f32_e32 v35, v45, v6
	v_mul_f32_e32 v36, v57, v9
	v_mul_f32_e32 v37, v57, v8
	;; [unrolled: 5-line block ×3, first 2 shown]
	v_fmac_f32_e32 v30, v48, v2
	v_fma_f32 v31, v48, v3, -v31
	s_waitcnt lgkmcnt(1)
	v_mul_f32_e32 v42, v59, v15
	v_mul_f32_e32 v43, v59, v14
	v_fmac_f32_e32 v32, v46, v4
	v_fma_f32 v33, v46, v5, -v33
	v_mul_f32_e32 v45, v55, v17
	v_mul_f32_e32 v47, v55, v16
	v_fmac_f32_e32 v34, v44, v6
	v_fma_f32 v35, v44, v7, -v35
	s_waitcnt lgkmcnt(0)
	v_mul_f32_e32 v49, v61, v19
	v_mul_f32_e32 v51, v61, v18
	v_fmac_f32_e32 v36, v56, v8
	v_fma_f32 v37, v56, v9, -v37
	v_mul_f32_e32 v53, v63, v21
	v_mul_f32_e32 v55, v63, v20
	v_fmac_f32_e32 v38, v52, v10
	v_fma_f32 v39, v52, v11, -v39
	v_fmac_f32_e32 v40, v50, v12
	v_fma_f32 v41, v50, v13, -v41
	v_cvt_f64_f32_e32 v[2:3], v30
	v_cvt_f64_f32_e32 v[4:5], v31
	v_fmac_f32_e32 v42, v58, v14
	v_fma_f32 v43, v58, v15, -v43
	v_cvt_f64_f32_e32 v[6:7], v32
	v_cvt_f64_f32_e32 v[8:9], v33
	;; [unrolled: 4-line block ×5, first 2 shown]
	v_cvt_f64_f32_e32 v[30:31], v40
	v_cvt_f64_f32_e32 v[32:33], v41
	;; [unrolled: 1-line block ×10, first 2 shown]
	v_mul_f64 v[2:3], v[2:3], s[2:3]
	v_mul_f64 v[4:5], v[4:5], s[2:3]
	;; [unrolled: 1-line block ×8, first 2 shown]
	v_add_co_ci_u32_e32 v29, vcc_lo, s1, v27, vcc_lo
	v_mul_f64 v[18:19], v[18:19], s[2:3]
	v_mul_f64 v[20:21], v[20:21], s[2:3]
	;; [unrolled: 1-line block ×12, first 2 shown]
	v_add_co_u32 v50, vcc_lo, v28, s0
	v_cvt_f32_f64_e32 v2, v[2:3]
	v_cvt_f32_f64_e32 v3, v[4:5]
	;; [unrolled: 1-line block ×4, first 2 shown]
	v_add_co_ci_u32_e32 v51, vcc_lo, s1, v29, vcc_lo
	v_cvt_f32_f64_e32 v6, v[10:11]
	v_cvt_f32_f64_e32 v7, v[12:13]
	;; [unrolled: 1-line block ×6, first 2 shown]
	v_add_co_u32 v52, vcc_lo, v50, s0
	v_cvt_f32_f64_e32 v12, v[30:31]
	v_cvt_f32_f64_e32 v13, v[32:33]
	;; [unrolled: 1-line block ×4, first 2 shown]
	v_add_co_ci_u32_e32 v53, vcc_lo, s1, v51, vcc_lo
	v_cvt_f32_f64_e32 v16, v[38:39]
	v_cvt_f32_f64_e32 v17, v[40:41]
	;; [unrolled: 1-line block ×6, first 2 shown]
	v_add_co_u32 v30, vcc_lo, v52, s0
	v_add_co_ci_u32_e32 v31, vcc_lo, s1, v53, vcc_lo
	v_add_co_u32 v32, vcc_lo, v30, s0
	v_add_co_ci_u32_e32 v33, vcc_lo, s1, v31, vcc_lo
	;; [unrolled: 2-line block ×3, first 2 shown]
	global_store_dwordx2 v[0:1], v[2:3], off
	global_store_dwordx2 v[22:23], v[4:5], off
	;; [unrolled: 1-line block ×10, first 2 shown]
.LBB0_2:
	s_endpgm
	.section	.rodata,"a",@progbits
	.p2align	6, 0x0
	.amdhsa_kernel bluestein_single_fwd_len1000_dim1_sp_op_CI_CI
		.amdhsa_group_segment_fixed_size 8000
		.amdhsa_private_segment_fixed_size 0
		.amdhsa_kernarg_size 104
		.amdhsa_user_sgpr_count 6
		.amdhsa_user_sgpr_private_segment_buffer 1
		.amdhsa_user_sgpr_dispatch_ptr 0
		.amdhsa_user_sgpr_queue_ptr 0
		.amdhsa_user_sgpr_kernarg_segment_ptr 1
		.amdhsa_user_sgpr_dispatch_id 0
		.amdhsa_user_sgpr_flat_scratch_init 0
		.amdhsa_user_sgpr_private_segment_size 0
		.amdhsa_wavefront_size32 1
		.amdhsa_uses_dynamic_stack 0
		.amdhsa_system_sgpr_private_segment_wavefront_offset 0
		.amdhsa_system_sgpr_workgroup_id_x 1
		.amdhsa_system_sgpr_workgroup_id_y 0
		.amdhsa_system_sgpr_workgroup_id_z 0
		.amdhsa_system_sgpr_workgroup_info 0
		.amdhsa_system_vgpr_workitem_id 0
		.amdhsa_next_free_vgpr 108
		.amdhsa_next_free_sgpr 20
		.amdhsa_reserve_vcc 1
		.amdhsa_reserve_flat_scratch 0
		.amdhsa_float_round_mode_32 0
		.amdhsa_float_round_mode_16_64 0
		.amdhsa_float_denorm_mode_32 3
		.amdhsa_float_denorm_mode_16_64 3
		.amdhsa_dx10_clamp 1
		.amdhsa_ieee_mode 1
		.amdhsa_fp16_overflow 0
		.amdhsa_workgroup_processor_mode 1
		.amdhsa_memory_ordered 1
		.amdhsa_forward_progress 0
		.amdhsa_shared_vgpr_count 0
		.amdhsa_exception_fp_ieee_invalid_op 0
		.amdhsa_exception_fp_denorm_src 0
		.amdhsa_exception_fp_ieee_div_zero 0
		.amdhsa_exception_fp_ieee_overflow 0
		.amdhsa_exception_fp_ieee_underflow 0
		.amdhsa_exception_fp_ieee_inexact 0
		.amdhsa_exception_int_div_zero 0
	.end_amdhsa_kernel
	.text
.Lfunc_end0:
	.size	bluestein_single_fwd_len1000_dim1_sp_op_CI_CI, .Lfunc_end0-bluestein_single_fwd_len1000_dim1_sp_op_CI_CI
                                        ; -- End function
	.section	.AMDGPU.csdata,"",@progbits
; Kernel info:
; codeLenInByte = 9172
; NumSgprs: 22
; NumVgprs: 108
; ScratchSize: 0
; MemoryBound: 0
; FloatMode: 240
; IeeeMode: 1
; LDSByteSize: 8000 bytes/workgroup (compile time only)
; SGPRBlocks: 2
; VGPRBlocks: 13
; NumSGPRsForWavesPerEU: 22
; NumVGPRsForWavesPerEU: 108
; Occupancy: 9
; WaveLimiterHint : 1
; COMPUTE_PGM_RSRC2:SCRATCH_EN: 0
; COMPUTE_PGM_RSRC2:USER_SGPR: 6
; COMPUTE_PGM_RSRC2:TRAP_HANDLER: 0
; COMPUTE_PGM_RSRC2:TGID_X_EN: 1
; COMPUTE_PGM_RSRC2:TGID_Y_EN: 0
; COMPUTE_PGM_RSRC2:TGID_Z_EN: 0
; COMPUTE_PGM_RSRC2:TIDIG_COMP_CNT: 0
	.text
	.p2alignl 6, 3214868480
	.fill 48, 4, 3214868480
	.type	__hip_cuid_dd8be6ec09461247,@object ; @__hip_cuid_dd8be6ec09461247
	.section	.bss,"aw",@nobits
	.globl	__hip_cuid_dd8be6ec09461247
__hip_cuid_dd8be6ec09461247:
	.byte	0                               ; 0x0
	.size	__hip_cuid_dd8be6ec09461247, 1

	.ident	"AMD clang version 19.0.0git (https://github.com/RadeonOpenCompute/llvm-project roc-6.4.0 25133 c7fe45cf4b819c5991fe208aaa96edf142730f1d)"
	.section	".note.GNU-stack","",@progbits
	.addrsig
	.addrsig_sym __hip_cuid_dd8be6ec09461247
	.amdgpu_metadata
---
amdhsa.kernels:
  - .args:
      - .actual_access:  read_only
        .address_space:  global
        .offset:         0
        .size:           8
        .value_kind:     global_buffer
      - .actual_access:  read_only
        .address_space:  global
        .offset:         8
        .size:           8
        .value_kind:     global_buffer
      - .actual_access:  read_only
        .address_space:  global
        .offset:         16
        .size:           8
        .value_kind:     global_buffer
      - .actual_access:  read_only
        .address_space:  global
        .offset:         24
        .size:           8
        .value_kind:     global_buffer
      - .actual_access:  read_only
        .address_space:  global
        .offset:         32
        .size:           8
        .value_kind:     global_buffer
      - .offset:         40
        .size:           8
        .value_kind:     by_value
      - .address_space:  global
        .offset:         48
        .size:           8
        .value_kind:     global_buffer
      - .address_space:  global
        .offset:         56
        .size:           8
        .value_kind:     global_buffer
      - .address_space:  global
        .offset:         64
        .size:           8
        .value_kind:     global_buffer
      - .address_space:  global
        .offset:         72
        .size:           8
        .value_kind:     global_buffer
      - .offset:         80
        .size:           4
        .value_kind:     by_value
      - .address_space:  global
        .offset:         88
        .size:           8
        .value_kind:     global_buffer
      - .address_space:  global
        .offset:         96
        .size:           8
        .value_kind:     global_buffer
    .group_segment_fixed_size: 8000
    .kernarg_segment_align: 8
    .kernarg_segment_size: 104
    .language:       OpenCL C
    .language_version:
      - 2
      - 0
    .max_flat_workgroup_size: 100
    .name:           bluestein_single_fwd_len1000_dim1_sp_op_CI_CI
    .private_segment_fixed_size: 0
    .sgpr_count:     22
    .sgpr_spill_count: 0
    .symbol:         bluestein_single_fwd_len1000_dim1_sp_op_CI_CI.kd
    .uniform_work_group_size: 1
    .uses_dynamic_stack: false
    .vgpr_count:     108
    .vgpr_spill_count: 0
    .wavefront_size: 32
    .workgroup_processor_mode: 1
amdhsa.target:   amdgcn-amd-amdhsa--gfx1030
amdhsa.version:
  - 1
  - 2
...

	.end_amdgpu_metadata
